;; amdgpu-corpus repo=ROCm/rocFFT kind=compiled arch=gfx1030 opt=O3
	.text
	.amdgcn_target "amdgcn-amd-amdhsa--gfx1030"
	.amdhsa_code_object_version 6
	.protected	fft_rtc_back_len128_factors_4_16_2_wgs_128_tpt_8_dim2_dp_op_CI_CI_unitstride_sbrc_aligned_dirReg ; -- Begin function fft_rtc_back_len128_factors_4_16_2_wgs_128_tpt_8_dim2_dp_op_CI_CI_unitstride_sbrc_aligned_dirReg
	.globl	fft_rtc_back_len128_factors_4_16_2_wgs_128_tpt_8_dim2_dp_op_CI_CI_unitstride_sbrc_aligned_dirReg
	.p2align	8
	.type	fft_rtc_back_len128_factors_4_16_2_wgs_128_tpt_8_dim2_dp_op_CI_CI_unitstride_sbrc_aligned_dirReg,@function
fft_rtc_back_len128_factors_4_16_2_wgs_128_tpt_8_dim2_dp_op_CI_CI_unitstride_sbrc_aligned_dirReg: ; @fft_rtc_back_len128_factors_4_16_2_wgs_128_tpt_8_dim2_dp_op_CI_CI_unitstride_sbrc_aligned_dirReg
; %bb.0:
	s_load_dwordx8 s[8:15], s[4:5], 0x0
	v_lshlrev_b32_e32 v3, 4, v0
	s_waitcnt lgkmcnt(0)
	s_load_dword s0, s[10:11], 0x8
	s_load_dwordx4 s[16:19], s[12:13], 0x8
	s_waitcnt lgkmcnt(0)
	s_add_i32 s0, s0, -1
	s_lshr_b32 s0, s0, 4
	s_add_i32 s7, s0, 1
	s_not_b32 s0, s0
	v_cvt_f32_u32_e32 v1, s7
	v_rcp_iflag_f32_e32 v1, v1
	v_mul_f32_e32 v1, 0x4f7ffffe, v1
	v_cvt_u32_f32_e32 v1, v1
	v_readfirstlane_b32 s1, v1
	s_mul_i32 s0, s0, s1
	s_mul_hi_u32 s0, s1, s0
	s_add_i32 s10, s1, s0
	s_load_dwordx4 s[0:3], s[14:15], 0x8
	s_waitcnt lgkmcnt(0)
	s_mul_hi_u32 s1, s6, s10
	s_load_dwordx4 s[12:15], s[4:5], 0x50
	s_mul_i32 s10, s1, s7
	s_add_i32 s11, s1, 1
	s_sub_i32 s10, s6, s10
	s_sub_i32 s17, s10, s7
	s_cmp_ge_u32 s10, s7
	s_cselect_b32 s1, s11, s1
	s_cselect_b32 s4, s17, s10
	s_add_i32 s5, s1, 1
	s_cmp_ge_u32 s4, s7
	s_cselect_b32 s1, s5, s1
	s_mov_b32 s5, 0
	s_mul_i32 s4, s1, s7
	s_mul_i32 s7, s19, s1
	s_mul_hi_u32 s10, s18, s1
	s_sub_i32 s4, s6, s4
	s_mul_i32 s18, s18, s1
	s_add_i32 s19, s10, s7
	s_mul_i32 s3, s3, s1
	s_mul_hi_u32 s11, s2, s1
	s_lshl_b32 s10, s4, 4
	s_lshl_b64 s[6:7], s[18:19], 4
	s_add_i32 s3, s11, s3
	s_mul_i32 s4, s10, s16
	s_waitcnt lgkmcnt(0)
	s_add_u32 s11, s12, s6
	s_addc_u32 s12, s13, s7
	s_lshl_b64 s[6:7], s[4:5], 4
	s_mov_b32 s17, s5
	s_add_u32 s6, s11, s6
	s_addc_u32 s7, s12, s7
	v_add_co_u32 v34, s11, s6, v3
	v_add_co_ci_u32_e64 v47, null, s7, 0, s11
	s_lshl_b64 s[18:19], s[16:17], 4
	s_add_i32 s4, s16, s16
	v_add_co_u32 v1, vcc_lo, v34, s18
	s_lshl_b64 s[12:13], s[4:5], 4
	s_add_i32 s4, s4, s16
	v_add_co_ci_u32_e32 v2, vcc_lo, s19, v47, vcc_lo
	v_add_co_u32 v12, vcc_lo, v34, s12
	s_lshl_b64 s[20:21], s[4:5], 4
	s_add_i32 s4, s4, s16
	v_add_co_ci_u32_e32 v13, vcc_lo, s13, v47, vcc_lo
	;; [unrolled: 4-line block ×5, first 2 shown]
	s_clause 0x3
	global_load_dwordx4 v[4:7], v3, s[6:7]
	global_load_dwordx4 v[8:11], v[1:2], off
	global_load_dwordx4 v[12:15], v[12:13], off
	global_load_dwordx4 v[16:19], v[16:17], off
	v_add_co_u32 v1, vcc_lo, v34, s18
	s_lshl_b64 s[12:13], s[4:5], 4
	s_add_i32 s4, s4, s16
	v_add_co_ci_u32_e32 v2, vcc_lo, s19, v47, vcc_lo
	v_add_co_u32 v32, vcc_lo, v34, s12
	s_lshl_b64 s[6:7], s[4:5], 4
	s_add_i32 s4, s4, s16
	v_add_co_ci_u32_e32 v33, vcc_lo, s13, v47, vcc_lo
	;; [unrolled: 4-line block ×4, first 2 shown]
	s_clause 0x3
	global_load_dwordx4 v[20:23], v[20:21], off
	global_load_dwordx4 v[24:27], v[24:25], off
	;; [unrolled: 1-line block ×4, first 2 shown]
	v_add_co_u32 v1, vcc_lo, v34, s6
	s_lshl_b64 s[12:13], s[4:5], 4
	s_add_i32 s4, s4, s16
	v_add_co_ci_u32_e32 v2, vcc_lo, s7, v47, vcc_lo
	v_add_co_u32 v32, vcc_lo, v34, s12
	s_lshl_b64 s[6:7], s[4:5], 4
	s_add_i32 s4, s4, s16
	v_add_co_ci_u32_e32 v33, vcc_lo, s13, v47, vcc_lo
	v_add_co_u32 v55, vcc_lo, v34, s6
	s_lshl_b64 s[12:13], s[4:5], 4
	v_add_co_ci_u32_e32 v56, vcc_lo, s7, v47, vcc_lo
	s_add_i32 s4, s4, s16
	v_add_co_u32 v59, vcc_lo, v34, s12
	s_lshl_b64 s[6:7], s[4:5], 4
	v_add_co_ci_u32_e32 v60, vcc_lo, s13, v47, vcc_lo
	s_add_i32 s4, s4, s16
	v_add_co_u32 v63, vcc_lo, v34, s6
	s_lshl_b64 s[4:5], s[4:5], 4
	v_add_co_ci_u32_e32 v64, vcc_lo, s7, v47, vcc_lo
	v_add_co_u32 v67, vcc_lo, v34, s4
	v_add_co_ci_u32_e32 v68, vcc_lo, s5, v47, vcc_lo
	s_clause 0x7
	global_load_dwordx4 v[39:42], v[39:40], off
	global_load_dwordx4 v[43:46], v[43:44], off
	;; [unrolled: 1-line block ×8, first 2 shown]
	v_lshrrev_b32_e32 v34, 4, v0
	v_and_b32_e32 v32, 15, v0
	v_lshl_add_u32 v33, v0, 8, 0
	s_mov_b32 s4, 0x667f3bcd
	s_mov_b32 s5, 0xbfe6a09e
	v_lshlrev_b32_e32 v2, 8, v34
	v_lshlrev_b32_e32 v1, 4, v32
	s_mov_b32 s7, 0x3fe6a09e
	s_mov_b32 s6, s4
	;; [unrolled: 1-line block ×4, first 2 shown]
	v_add3_u32 v3, 0, v2, v1
	v_bfe_u32 v2, v0, 4, 2
	s_mov_b32 s17, 0x3fed906b
	s_mov_b32 s16, s12
	;; [unrolled: 1-line block ×6, first 2 shown]
	s_mul_i32 s2, s2, s1
	v_or_b32_e32 v32, s10, v32
	s_lshl_b64 s[2:3], s[2:3], 4
	s_waitcnt vmcnt(15)
	ds_write_b128 v33, v[4:7]
	s_waitcnt vmcnt(14)
	ds_write_b128 v33, v[8:11] offset:16
	s_waitcnt vmcnt(13)
	ds_write_b128 v33, v[12:15] offset:32
	;; [unrolled: 2-line block ×15, first 2 shown]
	s_waitcnt lgkmcnt(0)
	s_barrier
	buffer_gl0_inv
	ds_read_b128 v[4:7], v3 offset:16384
	ds_read_b128 v[8:11], v3
	ds_read_b128 v[12:15], v3 offset:8192
	ds_read_b128 v[16:19], v3 offset:24576
	;; [unrolled: 1-line block ×14, first 2 shown]
	v_mul_u32_u24_e32 v33, 15, v2
	v_mad_u32_u24 v3, 0x300, v34, v3
	s_waitcnt lgkmcnt(0)
	s_barrier
	buffer_gl0_inv
	v_add_f64 v[71:72], v[8:9], -v[4:5]
	v_add_f64 v[73:74], v[10:11], -v[6:7]
	v_add_f64 v[6:7], v[12:13], -v[16:17]
	v_add_f64 v[4:5], v[14:15], -v[18:19]
	v_add_f64 v[75:76], v[20:21], -v[24:25]
	v_add_f64 v[77:78], v[22:23], -v[26:27]
	v_add_f64 v[24:25], v[28:29], -v[35:36]
	v_add_f64 v[16:17], v[30:31], -v[37:38]
	v_add_f64 v[79:80], v[43:44], -v[39:40]
	v_add_f64 v[81:82], v[45:46], -v[41:42]
	v_add_f64 v[35:36], v[47:48], -v[51:52]
	v_add_f64 v[26:27], v[49:50], -v[53:54]
	v_add_f64 v[83:84], v[55:56], -v[59:60]
	v_add_f64 v[85:86], v[57:58], -v[61:62]
	v_add_f64 v[51:52], v[63:64], -v[67:68]
	v_add_f64 v[39:40], v[65:66], -v[69:70]
	v_or_b32_e32 v38, 8, v34
	v_or_b32_e32 v37, 16, v34
	v_lshlrev_b32_e32 v33, 4, v33
	s_add_u32 s2, s14, s2
	s_addc_u32 s3, s15, s3
	s_lshl_b32 s1, s0, 6
	v_fma_f64 v[53:54], v[8:9], 2.0, -v[71:72]
	v_fma_f64 v[59:60], v[10:11], 2.0, -v[73:74]
	;; [unrolled: 1-line block ×16, first 2 shown]
	v_add_f64 v[4:5], v[71:72], v[4:5]
	v_add_f64 v[6:7], v[73:74], -v[6:7]
	v_add_f64 v[8:9], v[75:76], v[16:17]
	v_lshlrev_b32_e32 v93, 10, v37
	v_add_f64 v[12:13], v[53:54], -v[10:11]
	v_add_f64 v[14:15], v[59:60], -v[14:15]
	;; [unrolled: 1-line block ×5, first 2 shown]
	v_add_f64 v[20:21], v[79:80], v[26:27]
	v_add_f64 v[24:25], v[69:70], -v[22:23]
	v_add_f64 v[26:27], v[87:88], -v[28:29]
	;; [unrolled: 1-line block ×3, first 2 shown]
	v_add_f64 v[28:29], v[83:84], v[39:40]
	v_add_f64 v[39:40], v[89:90], -v[30:31]
	v_add_f64 v[41:42], v[91:92], -v[41:42]
	;; [unrolled: 1-line block ×3, first 2 shown]
	v_fma_f64 v[43:44], v[71:72], 2.0, -v[4:5]
	v_fma_f64 v[45:46], v[73:74], 2.0, -v[6:7]
	;; [unrolled: 1-line block ×3, first 2 shown]
	v_or_b32_e32 v35, 24, v34
	v_lshlrev_b32_e32 v36, 10, v38
	v_fma_f64 v[51:52], v[53:54], 2.0, -v[12:13]
	v_fma_f64 v[53:54], v[59:60], 2.0, -v[14:15]
	;; [unrolled: 1-line block ×3, first 2 shown]
	v_lshlrev_b32_e32 v94, 10, v35
	v_fma_f64 v[55:56], v[61:62], 2.0, -v[16:17]
	v_fma_f64 v[57:58], v[67:68], 2.0, -v[18:19]
	;; [unrolled: 1-line block ×3, first 2 shown]
	v_add3_u32 v36, 0, v36, v1
	v_fma_f64 v[63:64], v[69:70], 2.0, -v[24:25]
	v_fma_f64 v[65:66], v[87:88], 2.0, -v[26:27]
	;; [unrolled: 1-line block ×7, first 2 shown]
	v_add3_u32 v82, 0, v93, v1
	v_add3_u32 v90, 0, v94, v1
	ds_write_b128 v3, v[4:7] offset:768
	ds_write_b128 v3, v[43:46] offset:256
	;; [unrolled: 1-line block ×3, first 2 shown]
	ds_write_b128 v3, v[51:54]
	ds_write_b128 v36, v[55:58]
	ds_write_b128 v36, v[47:50] offset:256
	ds_write_b128 v36, v[16:19] offset:512
	ds_write_b128 v36, v[8:11] offset:768
	ds_write_b128 v82, v[63:66]
	ds_write_b128 v82, v[59:62] offset:256
	ds_write_b128 v82, v[24:27] offset:512
	ds_write_b128 v82, v[20:23] offset:768
	;; [unrolled: 4-line block ×3, first 2 shown]
	s_waitcnt lgkmcnt(0)
	s_barrier
	buffer_gl0_inv
	s_clause 0xe
	global_load_dwordx4 v[4:7], v33, s[8:9]
	global_load_dwordx4 v[8:11], v33, s[8:9] offset:16
	global_load_dwordx4 v[12:15], v33, s[8:9] offset:32
	;; [unrolled: 1-line block ×14, first 2 shown]
	v_mad_i32_i24 v41, 0xfffffd00, v38, v36
	v_mad_i32_i24 v36, 0xfffffd00, v37, v82
	v_or_b32_e32 v49, 32, v34
	v_and_b32_e32 v3, 0x70, v0
	v_mad_i32_i24 v40, 0xfffffd00, v35, v90
	ds_read_b128 v[82:85], v41
	ds_read_b128 v[86:89], v36
	v_lshlrev_b32_e32 v39, 8, v49
	v_lshlrev_b32_e32 v33, 4, v3
	v_or_b32_e32 v48, 40, v34
	v_or_b32_e32 v47, 48, v34
	;; [unrolled: 1-line block ×3, first 2 shown]
	v_add3_u32 v39, 0, v39, v1
	v_add3_u32 v46, 0, v33, v1
	ds_read_b128 v[90:93], v40
	ds_read_b128 v[94:97], v46 offset:30720
	ds_read_b128 v[98:101], v39
	v_lshlrev_b32_e32 v33, 8, v48
	v_and_or_b32 v0, v0, 64, v2
	v_add3_u32 v42, 0, v33, v1
	v_lshlrev_b32_e32 v0, 8, v0
	v_mov_b32_e32 v33, 0
	v_add3_u32 v0, 0, v0, v1
	s_waitcnt vmcnt(14) lgkmcnt(4)
	v_mul_f64 v[43:44], v[84:85], v[6:7]
	v_mul_f64 v[6:7], v[82:83], v[6:7]
	s_waitcnt vmcnt(13) lgkmcnt(3)
	v_mul_f64 v[102:103], v[88:89], v[10:11]
	v_mul_f64 v[10:11], v[86:87], v[10:11]
	;; [unrolled: 3-line block ×3, first 2 shown]
	v_fma_f64 v[82:83], v[82:83], v[4:5], v[43:44]
	v_fma_f64 v[84:85], v[84:85], v[4:5], -v[6:7]
	ds_read_b128 v[4:7], v42
	s_waitcnt vmcnt(11) lgkmcnt(1)
	v_mul_f64 v[106:107], v[100:101], v[18:19]
	v_mul_f64 v[18:19], v[98:99], v[18:19]
	v_fma_f64 v[86:87], v[86:87], v[8:9], v[102:103]
	v_fma_f64 v[88:89], v[88:89], v[8:9], -v[10:11]
	v_lshlrev_b32_e32 v8, 8, v47
	v_lshlrev_b32_e32 v9, 8, v45
	v_fma_f64 v[90:91], v[90:91], v[12:13], v[104:105]
	v_fma_f64 v[92:93], v[92:93], v[12:13], -v[14:15]
	v_add3_u32 v44, 0, v8, v1
	v_add3_u32 v43, 0, v9, v1
	ds_read_b128 v[8:11], v44
	ds_read_b128 v[12:15], v43
	s_waitcnt vmcnt(10) lgkmcnt(2)
	v_mul_f64 v[102:103], v[6:7], v[22:23]
	v_fma_f64 v[98:99], v[98:99], v[16:17], v[106:107]
	v_fma_f64 v[100:101], v[100:101], v[16:17], -v[18:19]
	v_mul_f64 v[16:17], v[4:5], v[22:23]
	s_waitcnt vmcnt(9) lgkmcnt(1)
	v_mul_f64 v[18:19], v[10:11], v[26:27]
	v_mul_f64 v[22:23], v[8:9], v[26:27]
	s_waitcnt vmcnt(8) lgkmcnt(0)
	v_mul_f64 v[26:27], v[14:15], v[30:31]
	v_fma_f64 v[102:103], v[4:5], v[20:21], v[102:103]
	v_fma_f64 v[20:21], v[6:7], v[20:21], -v[16:17]
	ds_read_b128 v[4:7], v46 offset:16384
	v_mul_f64 v[16:17], v[12:13], v[30:31]
	v_fma_f64 v[30:31], v[8:9], v[24:25], v[18:19]
	v_fma_f64 v[22:23], v[10:11], v[24:25], -v[22:23]
	ds_read_b128 v[8:11], v46
	v_fma_f64 v[26:27], v[12:13], v[28:29], v[26:27]
	s_waitcnt vmcnt(7) lgkmcnt(1)
	v_mul_f64 v[24:25], v[6:7], v[52:53]
	v_mul_f64 v[52:53], v[4:5], v[52:53]
	v_fma_f64 v[28:29], v[14:15], v[28:29], -v[16:17]
	ds_read_b128 v[12:15], v46 offset:18432
	ds_read_b128 v[16:19], v46 offset:20480
	v_fma_f64 v[24:25], v[4:5], v[50:51], v[24:25]
	s_waitcnt vmcnt(6) lgkmcnt(1)
	v_mul_f64 v[104:105], v[14:15], v[56:57]
	v_mul_f64 v[4:5], v[12:13], v[56:57]
	v_fma_f64 v[50:51], v[6:7], v[50:51], -v[52:53]
	s_waitcnt vmcnt(5) lgkmcnt(0)
	v_mul_f64 v[52:53], v[18:19], v[60:61]
	v_mul_f64 v[56:57], v[16:17], v[60:61]
	v_add_f64 v[24:25], v[8:9], -v[24:25]
	v_fma_f64 v[60:61], v[12:13], v[54:55], v[104:105]
	v_fma_f64 v[54:55], v[14:15], v[54:55], -v[4:5]
	ds_read_b128 v[4:7], v46 offset:24576
	ds_read_b128 v[12:15], v46 offset:22528
	v_fma_f64 v[52:53], v[16:17], v[58:59], v[52:53]
	v_fma_f64 v[56:57], v[18:19], v[58:59], -v[56:57]
	ds_read_b128 v[16:19], v46 offset:26624
	v_add_f64 v[50:51], v[10:11], -v[50:51]
	s_waitcnt vmcnt(4) lgkmcnt(2)
	v_mul_f64 v[104:105], v[6:7], v[64:65]
	v_mul_f64 v[58:59], v[4:5], v[64:65]
	v_add_f64 v[60:61], v[82:83], -v[60:61]
	v_add_f64 v[54:55], v[84:85], -v[54:55]
	;; [unrolled: 1-line block ×4, first 2 shown]
	v_fma_f64 v[8:9], v[8:9], 2.0, -v[24:25]
	v_fma_f64 v[10:11], v[10:11], 2.0, -v[50:51]
	v_fma_f64 v[64:65], v[4:5], v[62:63], v[104:105]
	v_fma_f64 v[58:59], v[6:7], v[62:63], -v[58:59]
	ds_read_b128 v[4:7], v46 offset:28672
	s_waitcnt vmcnt(3) lgkmcnt(1)
	v_mul_f64 v[62:63], v[18:19], v[68:69]
	v_mul_f64 v[68:69], v[16:17], v[68:69]
	s_waitcnt vmcnt(0) lgkmcnt(0)
	s_barrier
	buffer_gl0_inv
	v_mul_f64 v[104:105], v[6:7], v[72:73]
	v_add_f64 v[64:65], v[98:99], -v[64:65]
	v_add_f64 v[58:59], v[100:101], -v[58:59]
	v_fma_f64 v[16:17], v[16:17], v[66:67], v[62:63]
	v_mul_f64 v[62:63], v[4:5], v[72:73]
	v_fma_f64 v[18:19], v[18:19], v[66:67], -v[68:69]
	v_mul_f64 v[66:67], v[14:15], v[76:77]
	v_mul_f64 v[68:69], v[94:95], v[80:81]
	;; [unrolled: 1-line block ×3, first 2 shown]
	v_fma_f64 v[76:77], v[82:83], 2.0, -v[60:61]
	v_fma_f64 v[4:5], v[4:5], v[70:71], v[104:105]
	v_add_f64 v[16:17], v[102:103], -v[16:17]
	v_fma_f64 v[6:7], v[6:7], v[70:71], -v[62:63]
	v_mul_f64 v[62:63], v[96:97], v[80:81]
	v_fma_f64 v[12:13], v[12:13], v[74:75], v[66:67]
	v_fma_f64 v[66:67], v[96:97], v[78:79], -v[68:69]
	v_fma_f64 v[14:15], v[14:15], v[74:75], -v[72:73]
	v_add_f64 v[18:19], v[20:21], -v[18:19]
	v_fma_f64 v[68:69], v[98:99], 2.0, -v[64:65]
	v_fma_f64 v[70:71], v[100:101], 2.0, -v[58:59]
	;; [unrolled: 1-line block ×3, first 2 shown]
	v_add_f64 v[58:59], v[24:25], v[58:59]
	v_add_f64 v[64:65], v[50:51], -v[64:65]
	v_fma_f64 v[74:75], v[88:89], 2.0, -v[56:57]
	v_add_f64 v[4:5], v[30:31], -v[4:5]
	v_add_f64 v[6:7], v[22:23], -v[6:7]
	v_fma_f64 v[62:63], v[94:95], v[78:79], v[62:63]
	v_add_f64 v[12:13], v[90:91], -v[12:13]
	v_add_f64 v[66:67], v[28:29], -v[66:67]
	;; [unrolled: 1-line block ×3, first 2 shown]
	v_fma_f64 v[78:79], v[84:85], 2.0, -v[54:55]
	v_add_f64 v[80:81], v[60:61], v[18:19]
	v_add_f64 v[84:85], v[54:55], -v[16:17]
	v_fma_f64 v[16:17], v[102:103], 2.0, -v[16:17]
	v_fma_f64 v[18:19], v[20:21], 2.0, -v[18:19]
	;; [unrolled: 1-line block ×5, first 2 shown]
	v_add_f64 v[4:5], v[56:57], -v[4:5]
	v_fma_f64 v[22:23], v[22:23], 2.0, -v[6:7]
	v_add_f64 v[62:63], v[26:27], -v[62:63]
	v_add_f64 v[6:7], v[52:53], v[6:7]
	v_add_f64 v[82:83], v[12:13], v[66:67]
	v_fma_f64 v[20:21], v[90:91], 2.0, -v[12:13]
	v_fma_f64 v[88:89], v[92:93], 2.0, -v[14:15]
	;; [unrolled: 1-line block ×5, first 2 shown]
	v_add_f64 v[66:67], v[10:11], -v[70:71]
	v_add_f64 v[16:17], v[76:77], -v[16:17]
	;; [unrolled: 1-line block ×4, first 2 shown]
	v_fma_f64 v[56:57], v[56:57], 2.0, -v[4:5]
	v_fma_f64 v[70:71], v[4:5], s[6:7], v[64:65]
	v_add_f64 v[22:23], v[74:75], -v[22:23]
	v_add_f64 v[86:87], v[14:15], -v[62:63]
	v_fma_f64 v[26:27], v[26:27], 2.0, -v[62:63]
	v_fma_f64 v[12:13], v[12:13], 2.0, -v[82:83]
	v_fma_f64 v[52:53], v[52:53], 2.0, -v[6:7]
	v_add_f64 v[62:63], v[8:9], -v[68:69]
	v_add_f64 v[28:29], v[88:89], -v[28:29]
	v_fma_f64 v[68:69], v[6:7], s[6:7], v[58:59]
	v_fma_f64 v[90:91], v[82:83], s[6:7], v[80:81]
	v_fma_f64 v[10:11], v[10:11], 2.0, -v[66:67]
	v_fma_f64 v[76:77], v[76:77], 2.0, -v[16:17]
	;; [unrolled: 1-line block ×4, first 2 shown]
	v_fma_f64 v[100:101], v[56:57], s[4:5], v[50:51]
	v_add_f64 v[104:105], v[66:67], -v[30:31]
	v_fma_f64 v[70:71], v[6:7], s[4:5], v[70:71]
	v_fma_f64 v[74:75], v[74:75], 2.0, -v[22:23]
	v_fma_f64 v[14:15], v[14:15], 2.0, -v[86:87]
	v_add_f64 v[26:27], v[20:21], -v[26:27]
	v_fma_f64 v[92:93], v[86:87], s[6:7], v[84:85]
	v_fma_f64 v[94:95], v[12:13], s[4:5], v[60:61]
	;; [unrolled: 1-line block ×3, first 2 shown]
	v_fma_f64 v[8:9], v[8:9], 2.0, -v[62:63]
	v_fma_f64 v[88:89], v[88:89], 2.0, -v[28:29]
	v_add_f64 v[102:103], v[62:63], v[22:23]
	v_add_f64 v[22:23], v[16:17], v[28:29]
	v_fma_f64 v[28:29], v[86:87], s[6:7], v[90:91]
	v_fma_f64 v[68:69], v[4:5], s[6:7], v[68:69]
	;; [unrolled: 1-line block ×3, first 2 shown]
	v_fma_f64 v[20:21], v[20:21], 2.0, -v[26:27]
	v_add_f64 v[26:27], v[18:19], -v[26:27]
	v_fma_f64 v[30:31], v[82:83], s[4:5], v[92:93]
	v_fma_f64 v[82:83], v[14:15], s[6:7], v[94:95]
	;; [unrolled: 1-line block ×4, first 2 shown]
	v_add_f64 v[56:57], v[8:9], -v[72:73]
	v_add_f64 v[72:73], v[10:11], -v[74:75]
	;; [unrolled: 1-line block ×3, first 2 shown]
	v_fma_f64 v[4:5], v[22:23], s[6:7], v[102:103]
	v_fma_f64 v[52:53], v[16:17], 2.0, -v[22:23]
	v_fma_f64 v[74:75], v[62:63], 2.0, -v[102:103]
	;; [unrolled: 1-line block ×5, first 2 shown]
	v_fma_f64 v[16:17], v[28:29], s[16:17], v[68:69]
	v_fma_f64 v[86:87], v[12:13], s[4:5], v[96:97]
	v_add_f64 v[12:13], v[76:77], -v[20:21]
	v_fma_f64 v[6:7], v[26:27], s[6:7], v[104:105]
	v_fma_f64 v[20:21], v[18:19], 2.0, -v[26:27]
	v_fma_f64 v[66:67], v[84:85], 2.0, -v[30:31]
	;; [unrolled: 1-line block ×6, first 2 shown]
	v_fma_f64 v[18:19], v[30:31], s[16:17], v[70:71]
	v_fma_f64 v[98:99], v[8:9], 2.0, -v[56:57]
	v_fma_f64 v[100:101], v[10:11], 2.0, -v[72:73]
	;; [unrolled: 1-line block ×3, first 2 shown]
	v_fma_f64 v[4:5], v[26:27], s[6:7], v[4:5]
	v_add_f64 v[8:9], v[56:57], v[14:15]
	v_fma_f64 v[60:61], v[62:63], s[20:21], v[80:81]
	v_fma_f64 v[54:55], v[54:55], 2.0, -v[86:87]
	v_fma_f64 v[24:25], v[76:77], 2.0, -v[12:13]
	v_fma_f64 v[6:7], v[22:23], s[4:5], v[6:7]
	v_fma_f64 v[22:23], v[52:53], s[4:5], v[74:75]
	;; [unrolled: 1-line block ×7, first 2 shown]
	v_add_f64 v[10:11], v[72:73], -v[12:13]
	v_fma_f64 v[12:13], v[30:31], s[18:19], v[16:17]
	v_fma_f64 v[14:15], v[28:29], s[20:21], v[18:19]
	v_add_f64 v[18:19], v[100:101], -v[50:51]
	v_fma_f64 v[108:109], v[54:55], s[12:13], v[96:97]
	v_add_f64 v[16:17], v[98:99], -v[24:25]
	v_fma_f64 v[24:25], v[66:67], s[16:17], v[60:61]
	v_fma_f64 v[20:21], v[20:21], s[6:7], v[22:23]
	;; [unrolled: 1-line block ×7, first 2 shown]
	v_fma_f64 v[54:55], v[56:57], 2.0, -v[8:9]
	v_fma_f64 v[56:57], v[72:73], 2.0, -v[10:11]
	v_fma_f64 v[60:61], v[104:105], 2.0, -v[6:7]
	v_fma_f64 v[62:63], v[68:69], 2.0, -v[12:13]
	v_fma_f64 v[64:65], v[70:71], 2.0, -v[14:15]
	v_fma_f64 v[68:69], v[100:101], 2.0, -v[18:19]
	v_fma_f64 v[52:53], v[58:59], s[20:21], v[108:109]
	v_fma_f64 v[58:59], v[102:103], 2.0, -v[4:5]
	v_fma_f64 v[66:67], v[98:99], 2.0, -v[16:17]
	;; [unrolled: 1-line block ×10, first 2 shown]
	ds_write_b128 v0, v[8:11] offset:12288
	ds_write_b128 v0, v[4:7] offset:14336
	;; [unrolled: 1-line block ×10, first 2 shown]
	ds_write_b128 v0, v[66:69]
	ds_write_b128 v0, v[70:73] offset:2048
	ds_write_b128 v0, v[74:77] offset:3072
	ds_write_b128 v0, v[78:81] offset:5120
	ds_write_b128 v0, v[50:53] offset:9216
	ds_write_b128 v0, v[82:85] offset:1024
	v_lshlrev_b32_e32 v0, 4, v38
	v_lshlrev_b32_e32 v12, 4, v35
	s_waitcnt lgkmcnt(0)
	s_barrier
	buffer_gl0_inv
	s_clause 0x2
	global_load_dwordx4 v[4:7], v3, s[8:9] offset:960
	global_load_dwordx4 v[16:19], v12, s[8:9] offset:960
	;; [unrolled: 1-line block ×3, first 2 shown]
	v_lshlrev_b32_e32 v8, 4, v37
	v_lshlrev_b32_e32 v12, 4, v49
	;; [unrolled: 1-line block ×4, first 2 shown]
	v_mul_lo_u32 v50, v34, s0
	s_clause 0x1
	global_load_dwordx4 v[8:11], v8, s[8:9] offset:960
	global_load_dwordx4 v[28:31], v12, s[8:9] offset:960
	v_lshlrev_b32_e32 v12, 4, v48
	v_lshlrev_b64 v[52:53], 4, v[32:33]
	v_mov_b32_e32 v51, v33
	s_clause 0x2
	global_load_dwordx4 v[12:15], v12, s[8:9] offset:960
	global_load_dwordx4 v[20:23], v20, s[8:9] offset:960
	;; [unrolled: 1-line block ×3, first 2 shown]
	v_add_nc_u32_e32 v32, s1, v50
	v_add_co_u32 v116, vcc_lo, s2, v52
	v_add_co_ci_u32_e32 v117, vcc_lo, s3, v53, vcc_lo
	v_lshlrev_b64 v[54:55], 4, v[32:33]
	v_mul_lo_u32 v32, v38, s0
	v_lshlrev_b64 v[56:57], 4, v[32:33]
	v_add_nc_u32_e32 v32, s1, v32
	v_lshlrev_b64 v[58:59], 4, v[32:33]
	v_mul_lo_u32 v32, v37, s0
	v_lshlrev_b64 v[37:38], 4, v[50:51]
	ds_read_b128 v[50:53], v46 offset:16384
	v_add_co_u32 v74, vcc_lo, v116, v37
	v_add_co_ci_u32_e32 v75, vcc_lo, v117, v38, vcc_lo
	v_add_co_u32 v76, vcc_lo, v116, v54
	v_add_co_ci_u32_e32 v77, vcc_lo, v117, v55, vcc_lo
	;; [unrolled: 2-line block ×3, first 2 shown]
	ds_read_b128 v[54:57], v46 offset:18432
	v_lshlrev_b64 v[60:61], 4, v[32:33]
	v_add_nc_u32_e32 v32, s1, v32
	v_add_co_u32 v80, vcc_lo, v116, v58
	v_add_co_ci_u32_e32 v81, vcc_lo, v117, v59, vcc_lo
	v_lshlrev_b64 v[37:38], 4, v[32:33]
	v_mul_lo_u32 v32, v35, s0
	v_add_co_u32 v82, vcc_lo, v116, v60
	v_add_co_ci_u32_e32 v83, vcc_lo, v117, v61, vcc_lo
	ds_read_b128 v[58:61], v46 offset:20480
	ds_read_b128 v[62:65], v46
	ds_read_b128 v[66:69], v46 offset:22528
	v_add_co_u32 v84, vcc_lo, v116, v37
	v_lshlrev_b64 v[34:35], 4, v[32:33]
	v_add_nc_u32_e32 v32, s1, v32
	v_add_co_ci_u32_e32 v85, vcc_lo, v117, v38, vcc_lo
	v_lshlrev_b64 v[70:71], 4, v[32:33]
	v_mul_lo_u32 v32, v49, s0
	v_add_co_u32 v88, vcc_lo, v116, v34
	v_add_co_ci_u32_e32 v89, vcc_lo, v117, v35, vcc_lo
	v_add_co_u32 v94, vcc_lo, v116, v70
	v_add_co_ci_u32_e32 v95, vcc_lo, v117, v71, vcc_lo
	ds_read_b128 v[70:73], v46 offset:24576
	v_lshlrev_b64 v[37:38], 4, v[32:33]
	v_add_nc_u32_e32 v32, s1, v32
	v_lshlrev_b64 v[34:35], 4, v[32:33]
	v_mul_lo_u32 v32, v48, s0
	v_add_co_u32 v96, vcc_lo, v116, v37
	v_add_co_ci_u32_e32 v97, vcc_lo, v117, v38, vcc_lo
	v_lshlrev_b64 v[37:38], 4, v[32:33]
	v_add_nc_u32_e32 v32, s1, v32
	s_waitcnt vmcnt(7) lgkmcnt(5)
	v_mul_f64 v[86:87], v[52:53], v[6:7]
	v_mul_f64 v[6:7], v[50:51], v[6:7]
	s_waitcnt vmcnt(5) lgkmcnt(4)
	v_mul_f64 v[90:91], v[56:57], v[2:3]
	v_mul_f64 v[92:93], v[54:55], v[2:3]
	s_waitcnt lgkmcnt(1)
	v_mul_f64 v[102:103], v[68:69], v[18:19]
	v_mul_f64 v[18:19], v[66:67], v[18:19]
	s_waitcnt vmcnt(4)
	v_mul_f64 v[98:99], v[60:61], v[10:11]
	v_mul_f64 v[10:11], v[58:59], v[10:11]
	v_fma_f64 v[86:87], v[50:51], v[4:5], v[86:87]
	v_fma_f64 v[100:101], v[52:53], v[4:5], -v[6:7]
	ds_read_b128 v[2:5], v46 offset:26624
	ds_read_b128 v[48:51], v46 offset:28672
	v_fma_f64 v[90:91], v[54:55], v[0:1], v[90:91]
	ds_read_b128 v[52:55], v46 offset:30720
	v_fma_f64 v[56:57], v[56:57], v[0:1], -v[92:93]
	v_add_co_u32 v92, vcc_lo, v116, v34
	v_add_co_ci_u32_e32 v93, vcc_lo, v117, v35, vcc_lo
	s_waitcnt vmcnt(3) lgkmcnt(3)
	v_mul_f64 v[34:35], v[72:73], v[30:31]
	v_mul_f64 v[30:31], v[70:71], v[30:31]
	v_lshlrev_b64 v[0:1], 4, v[32:33]
	v_mul_lo_u32 v32, v47, s0
	v_fma_f64 v[46:47], v[58:59], v[8:9], v[98:99]
	v_fma_f64 v[58:59], v[60:61], v[8:9], -v[10:11]
	v_fma_f64 v[66:67], v[66:67], v[16:17], v[102:103]
	v_fma_f64 v[68:69], v[68:69], v[16:17], -v[18:19]
	v_add_co_u32 v102, vcc_lo, v116, v37
	v_add_co_ci_u32_e32 v103, vcc_lo, v117, v38, vcc_lo
	s_waitcnt vmcnt(2) lgkmcnt(2)
	v_mul_f64 v[10:11], v[4:5], v[14:15]
	v_mul_f64 v[60:61], v[2:3], v[14:15]
	s_waitcnt vmcnt(1) lgkmcnt(1)
	v_mul_f64 v[18:19], v[50:51], v[22:23]
	v_mul_f64 v[22:23], v[48:49], v[22:23]
	;; [unrolled: 3-line block ×3, first 2 shown]
	ds_read_b128 v[6:9], v41
	v_fma_f64 v[70:71], v[70:71], v[28:29], v[34:35]
	v_fma_f64 v[30:31], v[72:73], v[28:29], -v[30:31]
	ds_read_b128 v[14:17], v36
	ds_read_b128 v[26:29], v40
	v_add_co_u32 v72, vcc_lo, v116, v0
	v_add_co_ci_u32_e32 v73, vcc_lo, v117, v1, vcc_lo
	v_lshlrev_b64 v[34:35], 4, v[32:33]
	v_add_nc_u32_e32 v32, s1, v32
	v_fma_f64 v[106:107], v[2:3], v[12:13], v[10:11]
	v_fma_f64 v[4:5], v[4:5], v[12:13], -v[60:61]
	ds_read_b128 v[0:3], v39
	ds_read_b128 v[10:13], v42
	v_fma_f64 v[60:61], v[48:49], v[20:21], v[18:19]
	v_fma_f64 v[108:109], v[50:51], v[20:21], -v[22:23]
	v_fma_f64 v[98:99], v[52:53], v[24:25], v[98:99]
	ds_read_b128 v[18:21], v44
	v_fma_f64 v[110:111], v[54:55], v[24:25], -v[37:38]
	ds_read_b128 v[22:25], v43
	v_add_co_u32 v112, vcc_lo, v116, v34
	v_add_co_ci_u32_e32 v113, vcc_lo, v117, v35, vcc_lo
	v_add_f64 v[34:35], v[62:63], -v[86:87]
	v_add_f64 v[36:37], v[64:65], -v[100:101]
	s_waitcnt lgkmcnt(6)
	v_add_f64 v[38:39], v[6:7], -v[90:91]
	v_add_f64 v[40:41], v[8:9], -v[56:57]
	v_lshlrev_b64 v[104:105], 4, v[32:33]
	v_mul_lo_u32 v32, v45, s0
	s_waitcnt lgkmcnt(5)
	v_add_f64 v[42:43], v[14:15], -v[46:47]
	v_add_f64 v[44:45], v[16:17], -v[58:59]
	s_waitcnt lgkmcnt(4)
	v_add_f64 v[46:47], v[26:27], -v[66:67]
	v_add_f64 v[48:49], v[28:29], -v[68:69]
	;; [unrolled: 3-line block ×6, first 2 shown]
	v_lshlrev_b64 v[114:115], 4, v[32:33]
	v_add_nc_u32_e32 v32, s1, v32
	v_add_co_u32 v70, vcc_lo, v116, v104
	v_fma_f64 v[30:31], v[62:63], 2.0, -v[34:35]
	v_add_co_ci_u32_e32 v71, vcc_lo, v117, v105, vcc_lo
	v_lshlrev_b64 v[86:87], 4, v[32:33]
	v_fma_f64 v[32:33], v[64:65], 2.0, -v[36:37]
	v_fma_f64 v[4:5], v[6:7], 2.0, -v[38:39]
	;; [unrolled: 1-line block ×15, first 2 shown]
	v_add_co_u32 v12, vcc_lo, v116, v114
	v_add_co_ci_u32_e32 v13, vcc_lo, v117, v115, vcc_lo
	v_add_co_u32 v62, vcc_lo, v116, v86
	v_add_co_ci_u32_e32 v63, vcc_lo, v117, v87, vcc_lo
	global_store_dwordx4 v[74:75], v[30:33], off
	global_store_dwordx4 v[76:77], v[34:37], off
	;; [unrolled: 1-line block ×16, first 2 shown]
	s_endpgm
	.section	.rodata,"a",@progbits
	.p2align	6, 0x0
	.amdhsa_kernel fft_rtc_back_len128_factors_4_16_2_wgs_128_tpt_8_dim2_dp_op_CI_CI_unitstride_sbrc_aligned_dirReg
		.amdhsa_group_segment_fixed_size 0
		.amdhsa_private_segment_fixed_size 0
		.amdhsa_kernarg_size 96
		.amdhsa_user_sgpr_count 6
		.amdhsa_user_sgpr_private_segment_buffer 1
		.amdhsa_user_sgpr_dispatch_ptr 0
		.amdhsa_user_sgpr_queue_ptr 0
		.amdhsa_user_sgpr_kernarg_segment_ptr 1
		.amdhsa_user_sgpr_dispatch_id 0
		.amdhsa_user_sgpr_flat_scratch_init 0
		.amdhsa_user_sgpr_private_segment_size 0
		.amdhsa_wavefront_size32 1
		.amdhsa_uses_dynamic_stack 0
		.amdhsa_system_sgpr_private_segment_wavefront_offset 0
		.amdhsa_system_sgpr_workgroup_id_x 1
		.amdhsa_system_sgpr_workgroup_id_y 0
		.amdhsa_system_sgpr_workgroup_id_z 0
		.amdhsa_system_sgpr_workgroup_info 0
		.amdhsa_system_vgpr_workitem_id 0
		.amdhsa_next_free_vgpr 118
		.amdhsa_next_free_sgpr 24
		.amdhsa_reserve_vcc 1
		.amdhsa_reserve_flat_scratch 0
		.amdhsa_float_round_mode_32 0
		.amdhsa_float_round_mode_16_64 0
		.amdhsa_float_denorm_mode_32 3
		.amdhsa_float_denorm_mode_16_64 3
		.amdhsa_dx10_clamp 1
		.amdhsa_ieee_mode 1
		.amdhsa_fp16_overflow 0
		.amdhsa_workgroup_processor_mode 1
		.amdhsa_memory_ordered 1
		.amdhsa_forward_progress 0
		.amdhsa_shared_vgpr_count 0
		.amdhsa_exception_fp_ieee_invalid_op 0
		.amdhsa_exception_fp_denorm_src 0
		.amdhsa_exception_fp_ieee_div_zero 0
		.amdhsa_exception_fp_ieee_overflow 0
		.amdhsa_exception_fp_ieee_underflow 0
		.amdhsa_exception_fp_ieee_inexact 0
		.amdhsa_exception_int_div_zero 0
	.end_amdhsa_kernel
	.text
.Lfunc_end0:
	.size	fft_rtc_back_len128_factors_4_16_2_wgs_128_tpt_8_dim2_dp_op_CI_CI_unitstride_sbrc_aligned_dirReg, .Lfunc_end0-fft_rtc_back_len128_factors_4_16_2_wgs_128_tpt_8_dim2_dp_op_CI_CI_unitstride_sbrc_aligned_dirReg
                                        ; -- End function
	.section	.AMDGPU.csdata,"",@progbits
; Kernel info:
; codeLenInByte = 5552
; NumSgprs: 26
; NumVgprs: 118
; ScratchSize: 0
; MemoryBound: 0
; FloatMode: 240
; IeeeMode: 1
; LDSByteSize: 0 bytes/workgroup (compile time only)
; SGPRBlocks: 3
; VGPRBlocks: 14
; NumSGPRsForWavesPerEU: 26
; NumVGPRsForWavesPerEU: 118
; Occupancy: 8
; WaveLimiterHint : 1
; COMPUTE_PGM_RSRC2:SCRATCH_EN: 0
; COMPUTE_PGM_RSRC2:USER_SGPR: 6
; COMPUTE_PGM_RSRC2:TRAP_HANDLER: 0
; COMPUTE_PGM_RSRC2:TGID_X_EN: 1
; COMPUTE_PGM_RSRC2:TGID_Y_EN: 0
; COMPUTE_PGM_RSRC2:TGID_Z_EN: 0
; COMPUTE_PGM_RSRC2:TIDIG_COMP_CNT: 0
	.text
	.p2alignl 6, 3214868480
	.fill 48, 4, 3214868480
	.type	__hip_cuid_afacbcc9f26cc9fe,@object ; @__hip_cuid_afacbcc9f26cc9fe
	.section	.bss,"aw",@nobits
	.globl	__hip_cuid_afacbcc9f26cc9fe
__hip_cuid_afacbcc9f26cc9fe:
	.byte	0                               ; 0x0
	.size	__hip_cuid_afacbcc9f26cc9fe, 1

	.ident	"AMD clang version 19.0.0git (https://github.com/RadeonOpenCompute/llvm-project roc-6.4.0 25133 c7fe45cf4b819c5991fe208aaa96edf142730f1d)"
	.section	".note.GNU-stack","",@progbits
	.addrsig
	.addrsig_sym __hip_cuid_afacbcc9f26cc9fe
	.amdgpu_metadata
---
amdhsa.kernels:
  - .args:
      - .actual_access:  read_only
        .address_space:  global
        .offset:         0
        .size:           8
        .value_kind:     global_buffer
      - .actual_access:  read_only
        .address_space:  global
        .offset:         8
        .size:           8
        .value_kind:     global_buffer
      - .actual_access:  read_only
        .address_space:  global
        .offset:         16
        .size:           8
        .value_kind:     global_buffer
      - .actual_access:  read_only
        .address_space:  global
        .offset:         24
        .size:           8
        .value_kind:     global_buffer
      - .offset:         32
        .size:           8
        .value_kind:     by_value
      - .actual_access:  read_only
        .address_space:  global
        .offset:         40
        .size:           8
        .value_kind:     global_buffer
      - .actual_access:  read_only
        .address_space:  global
        .offset:         48
        .size:           8
        .value_kind:     global_buffer
      - .offset:         56
        .size:           4
        .value_kind:     by_value
      - .actual_access:  read_only
        .address_space:  global
        .offset:         64
        .size:           8
        .value_kind:     global_buffer
      - .actual_access:  read_only
        .address_space:  global
        .offset:         72
        .size:           8
        .value_kind:     global_buffer
      - .actual_access:  read_only
        .address_space:  global
        .offset:         80
        .size:           8
        .value_kind:     global_buffer
      - .actual_access:  write_only
        .address_space:  global
        .offset:         88
        .size:           8
        .value_kind:     global_buffer
    .group_segment_fixed_size: 0
    .kernarg_segment_align: 8
    .kernarg_segment_size: 96
    .language:       OpenCL C
    .language_version:
      - 2
      - 0
    .max_flat_workgroup_size: 128
    .name:           fft_rtc_back_len128_factors_4_16_2_wgs_128_tpt_8_dim2_dp_op_CI_CI_unitstride_sbrc_aligned_dirReg
    .private_segment_fixed_size: 0
    .sgpr_count:     26
    .sgpr_spill_count: 0
    .symbol:         fft_rtc_back_len128_factors_4_16_2_wgs_128_tpt_8_dim2_dp_op_CI_CI_unitstride_sbrc_aligned_dirReg.kd
    .uniform_work_group_size: 1
    .uses_dynamic_stack: false
    .vgpr_count:     118
    .vgpr_spill_count: 0
    .wavefront_size: 32
    .workgroup_processor_mode: 1
amdhsa.target:   amdgcn-amd-amdhsa--gfx1030
amdhsa.version:
  - 1
  - 2
...

	.end_amdgpu_metadata
